;; amdgpu-corpus repo=ROCm/rocFFT kind=compiled arch=gfx906 opt=O3
	.text
	.amdgcn_target "amdgcn-amd-amdhsa--gfx906"
	.amdhsa_code_object_version 6
	.protected	fft_rtc_back_len154_factors_11_7_2_wgs_110_tpt_22_dp_ip_CI_unitstride_sbrr_C2R_dirReg ; -- Begin function fft_rtc_back_len154_factors_11_7_2_wgs_110_tpt_22_dp_ip_CI_unitstride_sbrr_C2R_dirReg
	.globl	fft_rtc_back_len154_factors_11_7_2_wgs_110_tpt_22_dp_ip_CI_unitstride_sbrr_C2R_dirReg
	.p2align	8
	.type	fft_rtc_back_len154_factors_11_7_2_wgs_110_tpt_22_dp_ip_CI_unitstride_sbrr_C2R_dirReg,@function
fft_rtc_back_len154_factors_11_7_2_wgs_110_tpt_22_dp_ip_CI_unitstride_sbrr_C2R_dirReg: ; @fft_rtc_back_len154_factors_11_7_2_wgs_110_tpt_22_dp_ip_CI_unitstride_sbrr_C2R_dirReg
; %bb.0:
	s_load_dwordx2 s[12:13], s[4:5], 0x50
	s_load_dwordx4 s[8:11], s[4:5], 0x0
	s_load_dwordx2 s[2:3], s[4:5], 0x18
	v_mul_u32_u24_e32 v1, 0xba3, v0
	v_lshrrev_b32_e32 v1, 16, v1
	v_mad_u64_u32 v[1:2], s[0:1], s6, 5, v[1:2]
	v_mov_b32_e32 v5, 0
	s_waitcnt lgkmcnt(0)
	v_cmp_lt_u64_e64 s[0:1], s[10:11], 2
	v_mov_b32_e32 v2, v5
	v_mov_b32_e32 v3, 0
	;; [unrolled: 1-line block ×3, first 2 shown]
	s_and_b64 vcc, exec, s[0:1]
	v_mov_b32_e32 v4, 0
	v_mov_b32_e32 v9, v1
	s_cbranch_vccnz .LBB0_8
; %bb.1:
	s_load_dwordx2 s[0:1], s[4:5], 0x10
	s_add_u32 s6, s2, 8
	s_addc_u32 s7, s3, 0
	v_mov_b32_e32 v3, 0
	v_mov_b32_e32 v8, v2
	s_waitcnt lgkmcnt(0)
	s_add_u32 s16, s0, 8
	s_mov_b64 s[14:15], 1
	v_mov_b32_e32 v4, 0
	s_addc_u32 s17, s1, 0
	v_mov_b32_e32 v7, v1
.LBB0_2:                                ; =>This Inner Loop Header: Depth=1
	s_load_dwordx2 s[18:19], s[16:17], 0x0
                                        ; implicit-def: $vgpr9_vgpr10
	s_waitcnt lgkmcnt(0)
	v_or_b32_e32 v6, s19, v8
	v_cmp_ne_u64_e32 vcc, 0, v[5:6]
	s_and_saveexec_b64 s[0:1], vcc
	s_xor_b64 s[20:21], exec, s[0:1]
	s_cbranch_execz .LBB0_4
; %bb.3:                                ;   in Loop: Header=BB0_2 Depth=1
	v_cvt_f32_u32_e32 v2, s18
	v_cvt_f32_u32_e32 v6, s19
	s_sub_u32 s0, 0, s18
	s_subb_u32 s1, 0, s19
	v_mac_f32_e32 v2, 0x4f800000, v6
	v_rcp_f32_e32 v2, v2
	v_mul_f32_e32 v2, 0x5f7ffffc, v2
	v_mul_f32_e32 v6, 0x2f800000, v2
	v_trunc_f32_e32 v6, v6
	v_mac_f32_e32 v2, 0xcf800000, v6
	v_cvt_u32_f32_e32 v6, v6
	v_cvt_u32_f32_e32 v2, v2
	v_mul_lo_u32 v9, s0, v6
	v_mul_hi_u32 v10, s0, v2
	v_mul_lo_u32 v12, s1, v2
	v_mul_lo_u32 v11, s0, v2
	v_add_u32_e32 v9, v10, v9
	v_add_u32_e32 v9, v9, v12
	v_mul_hi_u32 v10, v2, v11
	v_mul_lo_u32 v12, v2, v9
	v_mul_hi_u32 v14, v2, v9
	v_mul_hi_u32 v13, v6, v11
	v_mul_lo_u32 v11, v6, v11
	v_mul_hi_u32 v15, v6, v9
	v_add_co_u32_e32 v10, vcc, v10, v12
	v_addc_co_u32_e32 v12, vcc, 0, v14, vcc
	v_mul_lo_u32 v9, v6, v9
	v_add_co_u32_e32 v10, vcc, v10, v11
	v_addc_co_u32_e32 v10, vcc, v12, v13, vcc
	v_addc_co_u32_e32 v11, vcc, 0, v15, vcc
	v_add_co_u32_e32 v9, vcc, v10, v9
	v_addc_co_u32_e32 v10, vcc, 0, v11, vcc
	v_add_co_u32_e32 v2, vcc, v2, v9
	v_addc_co_u32_e32 v6, vcc, v6, v10, vcc
	v_mul_lo_u32 v9, s0, v6
	v_mul_hi_u32 v10, s0, v2
	v_mul_lo_u32 v11, s1, v2
	v_mul_lo_u32 v12, s0, v2
	v_add_u32_e32 v9, v10, v9
	v_add_u32_e32 v9, v9, v11
	v_mul_lo_u32 v13, v2, v9
	v_mul_hi_u32 v14, v2, v12
	v_mul_hi_u32 v15, v2, v9
	;; [unrolled: 1-line block ×3, first 2 shown]
	v_mul_lo_u32 v12, v6, v12
	v_mul_hi_u32 v10, v6, v9
	v_add_co_u32_e32 v13, vcc, v14, v13
	v_addc_co_u32_e32 v14, vcc, 0, v15, vcc
	v_mul_lo_u32 v9, v6, v9
	v_add_co_u32_e32 v12, vcc, v13, v12
	v_addc_co_u32_e32 v11, vcc, v14, v11, vcc
	v_addc_co_u32_e32 v10, vcc, 0, v10, vcc
	v_add_co_u32_e32 v9, vcc, v11, v9
	v_addc_co_u32_e32 v10, vcc, 0, v10, vcc
	v_add_co_u32_e32 v2, vcc, v2, v9
	v_addc_co_u32_e32 v6, vcc, v6, v10, vcc
	v_mad_u64_u32 v[9:10], s[0:1], v7, v6, 0
	v_mul_hi_u32 v11, v7, v2
	v_add_co_u32_e32 v13, vcc, v11, v9
	v_addc_co_u32_e32 v14, vcc, 0, v10, vcc
	v_mad_u64_u32 v[9:10], s[0:1], v8, v2, 0
	v_mad_u64_u32 v[11:12], s[0:1], v8, v6, 0
	v_add_co_u32_e32 v2, vcc, v13, v9
	v_addc_co_u32_e32 v2, vcc, v14, v10, vcc
	v_addc_co_u32_e32 v6, vcc, 0, v12, vcc
	v_add_co_u32_e32 v2, vcc, v2, v11
	v_addc_co_u32_e32 v6, vcc, 0, v6, vcc
	v_mul_lo_u32 v11, s19, v2
	v_mul_lo_u32 v12, s18, v6
	v_mad_u64_u32 v[9:10], s[0:1], s18, v2, 0
	v_add3_u32 v10, v10, v12, v11
	v_sub_u32_e32 v11, v8, v10
	v_mov_b32_e32 v12, s19
	v_sub_co_u32_e32 v9, vcc, v7, v9
	v_subb_co_u32_e64 v11, s[0:1], v11, v12, vcc
	v_subrev_co_u32_e64 v12, s[0:1], s18, v9
	v_subbrev_co_u32_e64 v11, s[0:1], 0, v11, s[0:1]
	v_cmp_le_u32_e64 s[0:1], s19, v11
	v_cndmask_b32_e64 v13, 0, -1, s[0:1]
	v_cmp_le_u32_e64 s[0:1], s18, v12
	v_cndmask_b32_e64 v12, 0, -1, s[0:1]
	v_cmp_eq_u32_e64 s[0:1], s19, v11
	v_cndmask_b32_e64 v11, v13, v12, s[0:1]
	v_add_co_u32_e64 v12, s[0:1], 2, v2
	v_addc_co_u32_e64 v13, s[0:1], 0, v6, s[0:1]
	v_add_co_u32_e64 v14, s[0:1], 1, v2
	v_addc_co_u32_e64 v15, s[0:1], 0, v6, s[0:1]
	v_subb_co_u32_e32 v10, vcc, v8, v10, vcc
	v_cmp_ne_u32_e64 s[0:1], 0, v11
	v_cmp_le_u32_e32 vcc, s19, v10
	v_cndmask_b32_e64 v11, v15, v13, s[0:1]
	v_cndmask_b32_e64 v13, 0, -1, vcc
	v_cmp_le_u32_e32 vcc, s18, v9
	v_cndmask_b32_e64 v9, 0, -1, vcc
	v_cmp_eq_u32_e32 vcc, s19, v10
	v_cndmask_b32_e32 v9, v13, v9, vcc
	v_cmp_ne_u32_e32 vcc, 0, v9
	v_cndmask_b32_e32 v10, v6, v11, vcc
	v_cndmask_b32_e64 v6, v14, v12, s[0:1]
	v_cndmask_b32_e32 v9, v2, v6, vcc
.LBB0_4:                                ;   in Loop: Header=BB0_2 Depth=1
	s_andn2_saveexec_b64 s[0:1], s[20:21]
	s_cbranch_execz .LBB0_6
; %bb.5:                                ;   in Loop: Header=BB0_2 Depth=1
	v_cvt_f32_u32_e32 v2, s18
	s_sub_i32 s20, 0, s18
	v_rcp_iflag_f32_e32 v2, v2
	v_mul_f32_e32 v2, 0x4f7ffffe, v2
	v_cvt_u32_f32_e32 v2, v2
	v_mul_lo_u32 v6, s20, v2
	v_mul_hi_u32 v6, v2, v6
	v_add_u32_e32 v2, v2, v6
	v_mul_hi_u32 v2, v7, v2
	v_mul_lo_u32 v6, v2, s18
	v_add_u32_e32 v9, 1, v2
	v_sub_u32_e32 v6, v7, v6
	v_subrev_u32_e32 v10, s18, v6
	v_cmp_le_u32_e32 vcc, s18, v6
	v_cndmask_b32_e32 v6, v6, v10, vcc
	v_cndmask_b32_e32 v2, v2, v9, vcc
	v_add_u32_e32 v9, 1, v2
	v_cmp_le_u32_e32 vcc, s18, v6
	v_cndmask_b32_e32 v9, v2, v9, vcc
	v_mov_b32_e32 v10, v5
.LBB0_6:                                ;   in Loop: Header=BB0_2 Depth=1
	s_or_b64 exec, exec, s[0:1]
	v_mul_lo_u32 v2, v10, s18
	v_mul_lo_u32 v6, v9, s19
	v_mad_u64_u32 v[11:12], s[0:1], v9, s18, 0
	s_load_dwordx2 s[0:1], s[6:7], 0x0
	s_add_u32 s14, s14, 1
	v_add3_u32 v2, v12, v6, v2
	v_sub_co_u32_e32 v6, vcc, v7, v11
	v_subb_co_u32_e32 v2, vcc, v8, v2, vcc
	s_waitcnt lgkmcnt(0)
	v_mul_lo_u32 v2, s0, v2
	v_mul_lo_u32 v7, s1, v6
	v_mad_u64_u32 v[3:4], s[0:1], s0, v6, v[3:4]
	s_addc_u32 s15, s15, 0
	s_add_u32 s6, s6, 8
	v_add3_u32 v4, v7, v4, v2
	v_mov_b32_e32 v6, s10
	v_mov_b32_e32 v7, s11
	s_addc_u32 s7, s7, 0
	v_cmp_ge_u64_e32 vcc, s[14:15], v[6:7]
	s_add_u32 s16, s16, 8
	s_addc_u32 s17, s17, 0
	s_cbranch_vccnz .LBB0_8
; %bb.7:                                ;   in Loop: Header=BB0_2 Depth=1
	v_mov_b32_e32 v7, v9
	v_mov_b32_e32 v8, v10
	s_branch .LBB0_2
.LBB0_8:
	s_lshl_b64 s[0:1], s[10:11], 3
	s_add_u32 s0, s2, s0
	s_addc_u32 s1, s3, s1
	s_load_dwordx2 s[0:1], s[0:1], 0x0
	s_mov_b32 s2, 0xcccccccd
	v_mul_hi_u32 v5, v1, s2
	s_mov_b32 s2, 0xba2e8bb
	s_waitcnt lgkmcnt(0)
	v_mul_lo_u32 v6, s0, v10
	v_mul_lo_u32 v7, s1, v9
	v_mad_u64_u32 v[2:3], s[0:1], s0, v9, v[3:4]
	s_load_dwordx2 s[0:1], s[4:5], 0x20
	v_lshrrev_b32_e32 v4, 2, v5
	v_mul_hi_u32 v5, v0, s2
	v_lshl_add_u32 v4, v4, 2, v4
	v_sub_u32_e32 v1, v1, v4
	v_add3_u32 v3, v7, v3, v6
	v_mul_u32_u24_e32 v6, 0x9b, v1
	v_mul_u32_u24_e32 v1, 22, v5
	s_waitcnt lgkmcnt(0)
	v_cmp_gt_u64_e32 vcc, s[0:1], v[9:10]
	v_sub_u32_e32 v4, v0, v1
	v_lshlrev_b64 v[62:63], 4, v[2:3]
	v_mov_b32_e32 v5, 0
	v_lshlrev_b32_e32 v118, 4, v6
	v_mov_b32_e32 v60, v4
	s_and_saveexec_b64 s[2:3], vcc
	s_cbranch_execz .LBB0_12
; %bb.9:
	v_mov_b32_e32 v1, s13
	v_add_co_u32_e64 v0, s[0:1], s12, v62
	v_lshlrev_b64 v[2:3], 4, v[4:5]
	v_addc_co_u32_e64 v1, s[0:1], v1, v63, s[0:1]
	v_add_co_u32_e64 v2, s[0:1], v0, v2
	v_addc_co_u32_e64 v3, s[0:1], v1, v3, s[0:1]
	global_load_dwordx4 v[8:11], v[2:3], off
	global_load_dwordx4 v[12:15], v[2:3], off offset:352
	global_load_dwordx4 v[16:19], v[2:3], off offset:704
	;; [unrolled: 1-line block ×6, first 2 shown]
	v_lshlrev_b32_e32 v2, 4, v4
	v_add3_u32 v7, 0, v118, v2
	v_mov_b32_e32 v2, v4
	v_cmp_eq_u32_e64 s[0:1], 21, v4
	v_mov_b32_e32 v3, v5
	s_waitcnt vmcnt(6)
	ds_write_b128 v7, v[8:11]
	s_waitcnt vmcnt(5)
	ds_write_b128 v7, v[12:15] offset:352
	s_waitcnt vmcnt(4)
	ds_write_b128 v7, v[16:19] offset:704
	;; [unrolled: 2-line block ×6, first 2 shown]
	s_and_saveexec_b64 s[4:5], s[0:1]
	s_cbranch_execz .LBB0_11
; %bb.10:
	global_load_dwordx4 v[8:11], v[0:1], off offset:2464
	v_mov_b32_e32 v2, 21
	v_mov_b32_e32 v3, 0
	;; [unrolled: 1-line block ×3, first 2 shown]
	s_waitcnt vmcnt(0)
	ds_write_b128 v7, v[8:11] offset:2128
.LBB0_11:
	s_or_b64 exec, exec, s[4:5]
	v_mov_b32_e32 v60, v4
	v_mov_b32_e32 v5, v3
	;; [unrolled: 1-line block ×3, first 2 shown]
.LBB0_12:
	s_or_b64 exec, exec, s[2:3]
	v_lshl_add_u32 v116, v6, 4, 0
	v_lshlrev_b32_e32 v0, 4, v60
	v_add_u32_e32 v117, v116, v0
	s_waitcnt lgkmcnt(0)
	s_barrier
	v_sub_u32_e32 v7, v116, v0
	ds_read_b64 v[2:3], v117
	ds_read_b64 v[8:9], v7 offset:2464
	v_lshlrev_b64 v[64:65], 4, v[4:5]
	v_cmp_ne_u32_e64 s[0:1], 0, v60
	s_waitcnt lgkmcnt(0)
	v_add_f64 v[0:1], v[2:3], v[8:9]
	v_add_f64 v[2:3], v[2:3], -v[8:9]
	s_and_saveexec_b64 s[2:3], s[0:1]
	s_xor_b64 s[2:3], exec, s[2:3]
	s_cbranch_execz .LBB0_14
; %bb.13:
	v_mov_b32_e32 v5, s9
	v_add_co_u32_e64 v4, s[0:1], s8, v64
	v_addc_co_u32_e64 v5, s[0:1], v5, v65, s[0:1]
	global_load_dwordx4 v[8:11], v[4:5], off offset:2288
	ds_read_b64 v[4:5], v7 offset:2472
	ds_read_b64 v[12:13], v117 offset:8
	s_waitcnt lgkmcnt(0)
	v_add_f64 v[14:15], v[4:5], v[12:13]
	v_add_f64 v[4:5], v[12:13], -v[4:5]
	s_waitcnt vmcnt(0)
	v_fma_f64 v[12:13], v[2:3], v[10:11], v[0:1]
	v_fma_f64 v[16:17], v[14:15], v[10:11], v[4:5]
	v_fma_f64 v[0:1], -v[2:3], v[10:11], v[0:1]
	v_fma_f64 v[4:5], v[14:15], v[10:11], -v[4:5]
	v_fma_f64 v[10:11], -v[14:15], v[8:9], v[12:13]
	v_fma_f64 v[12:13], v[2:3], v[8:9], v[16:17]
	v_fma_f64 v[0:1], v[14:15], v[8:9], v[0:1]
	;; [unrolled: 1-line block ×3, first 2 shown]
	ds_write_b128 v117, v[10:13]
	ds_write_b128 v7, v[0:3] offset:2464
                                        ; implicit-def: $vgpr0_vgpr1
.LBB0_14:
	s_andn2_saveexec_b64 s[0:1], s[2:3]
	s_cbranch_execz .LBB0_16
; %bb.15:
	ds_write_b128 v117, v[0:3]
	ds_read_b128 v[0:3], v116 offset:1232
	s_waitcnt lgkmcnt(0)
	v_add_f64 v[0:1], v[0:1], v[0:1]
	v_mul_f64 v[2:3], v[2:3], -2.0
	ds_write_b128 v116, v[0:3] offset:1232
.LBB0_16:
	s_or_b64 exec, exec, s[0:1]
	v_mov_b32_e32 v61, 0
	s_add_u32 s0, s8, 0x8f0
	v_lshlrev_b64 v[66:67], 4, v[60:61]
	s_addc_u32 s1, s9, 0
	v_mov_b32_e32 v1, s1
	v_add_co_u32_e64 v0, s[0:1], s0, v66
	v_addc_co_u32_e64 v1, s[0:1], v1, v67, s[0:1]
	global_load_dwordx4 v[2:5], v[0:1], off offset:352
	global_load_dwordx4 v[8:11], v[0:1], off offset:704
	ds_read_b128 v[12:15], v117 offset:352
	ds_read_b128 v[16:19], v7 offset:2112
	v_cmp_gt_u32_e64 s[0:1], 11, v60
	s_waitcnt lgkmcnt(0)
	v_add_f64 v[20:21], v[12:13], v[16:17]
	v_add_f64 v[22:23], v[18:19], v[14:15]
	v_add_f64 v[24:25], v[12:13], -v[16:17]
	v_add_f64 v[12:13], v[14:15], -v[18:19]
	s_waitcnt vmcnt(1)
	v_fma_f64 v[14:15], v[24:25], v[4:5], v[20:21]
	v_fma_f64 v[16:17], v[22:23], v[4:5], v[12:13]
	v_fma_f64 v[18:19], -v[24:25], v[4:5], v[20:21]
	v_fma_f64 v[4:5], v[22:23], v[4:5], -v[12:13]
	v_fma_f64 v[12:13], -v[22:23], v[2:3], v[14:15]
	v_fma_f64 v[14:15], v[24:25], v[2:3], v[16:17]
	v_fma_f64 v[16:17], v[22:23], v[2:3], v[18:19]
	;; [unrolled: 1-line block ×3, first 2 shown]
	ds_write_b128 v117, v[12:15] offset:352
	ds_write_b128 v7, v[16:19] offset:2112
	ds_read_b128 v[2:5], v117 offset:704
	ds_read_b128 v[12:15], v7 offset:1760
	s_waitcnt lgkmcnt(0)
	v_add_f64 v[16:17], v[2:3], v[12:13]
	v_add_f64 v[18:19], v[14:15], v[4:5]
	v_add_f64 v[12:13], v[2:3], -v[12:13]
	v_add_f64 v[2:3], v[4:5], -v[14:15]
	s_waitcnt vmcnt(0)
	v_fma_f64 v[4:5], v[12:13], v[10:11], v[16:17]
	v_fma_f64 v[14:15], v[18:19], v[10:11], v[2:3]
	v_fma_f64 v[16:17], -v[12:13], v[10:11], v[16:17]
	v_fma_f64 v[20:21], v[18:19], v[10:11], -v[2:3]
	v_fma_f64 v[2:3], -v[18:19], v[8:9], v[4:5]
	v_fma_f64 v[4:5], v[12:13], v[8:9], v[14:15]
	v_fma_f64 v[10:11], v[18:19], v[8:9], v[16:17]
	;; [unrolled: 1-line block ×3, first 2 shown]
	ds_write_b128 v117, v[2:5] offset:704
	ds_write_b128 v7, v[10:13] offset:1760
	s_and_saveexec_b64 s[2:3], s[0:1]
	s_cbranch_execz .LBB0_18
; %bb.17:
	global_load_dwordx4 v[0:3], v[0:1], off offset:1056
	ds_read_b128 v[8:11], v117 offset:1056
	ds_read_b128 v[12:15], v7 offset:1408
	s_waitcnt lgkmcnt(0)
	v_add_f64 v[4:5], v[8:9], v[12:13]
	v_add_f64 v[16:17], v[14:15], v[10:11]
	v_add_f64 v[12:13], v[8:9], -v[12:13]
	v_add_f64 v[8:9], v[10:11], -v[14:15]
	s_waitcnt vmcnt(0)
	v_fma_f64 v[10:11], v[12:13], v[2:3], v[4:5]
	v_fma_f64 v[14:15], v[16:17], v[2:3], v[8:9]
	v_fma_f64 v[18:19], -v[12:13], v[2:3], v[4:5]
	v_fma_f64 v[20:21], v[16:17], v[2:3], -v[8:9]
	v_fma_f64 v[2:3], -v[16:17], v[0:1], v[10:11]
	v_fma_f64 v[4:5], v[12:13], v[0:1], v[14:15]
	v_fma_f64 v[8:9], v[16:17], v[0:1], v[18:19]
	;; [unrolled: 1-line block ×3, first 2 shown]
	ds_write_b128 v117, v[2:5] offset:1056
	ds_write_b128 v7, v[8:11] offset:1408
.LBB0_18:
	s_or_b64 exec, exec, s[2:3]
	v_lshl_add_u32 v119, v60, 4, 0
	v_lshl_add_u32 v61, v6, 4, v119
	s_waitcnt lgkmcnt(0)
	s_barrier
	s_barrier
	ds_read_b128 v[4:7], v61 offset:2240
	ds_read_b128 v[36:39], v61 offset:224
	ds_read_b128 v[12:15], v117
	ds_read_b128 v[8:11], v61 offset:2016
	ds_read_b128 v[44:47], v61 offset:448
	s_mov_b32 s14, 0xbb3a28a1
	s_mov_b32 s15, 0xbfe82f19
	s_waitcnt lgkmcnt(3)
	v_add_f64 v[78:79], v[38:39], -v[6:7]
	v_add_f64 v[68:69], v[36:37], v[4:5]
	s_waitcnt lgkmcnt(0)
	v_add_f64 v[82:83], v[46:47], -v[10:11]
	v_add_f64 v[84:85], v[38:39], v[6:7]
	s_mov_b32 s4, 0x7f775887
	s_mov_b32 s26, 0x43842ef
	;; [unrolled: 1-line block ×4, first 2 shown]
	v_mul_f64 v[52:53], v[78:79], s[14:15]
	ds_read_b128 v[40:43], v61 offset:672
	ds_read_b128 v[16:19], v61 offset:1792
	v_add_f64 v[70:71], v[44:45], v[8:9]
	v_mul_f64 v[56:57], v[82:83], s[26:27]
	v_add_f64 v[96:97], v[36:37], -v[4:5]
	v_mul_f64 v[50:51], v[84:85], s[4:5]
	v_add_f64 v[72:73], v[46:47], v[10:11]
	s_waitcnt lgkmcnt(0)
	v_add_f64 v[74:75], v[42:43], -v[18:19]
	v_fma_f64 v[0:1], v[68:69], s[4:5], -v[52:53]
	s_mov_b32 s6, 0x640f44db
	s_mov_b32 s7, 0xbfc2375f
	v_fma_f64 v[2:3], v[70:71], s[6:7], -v[56:57]
	v_add_f64 v[98:99], v[44:45], -v[8:9]
	v_fma_f64 v[20:21], v[96:97], s[14:15], v[50:51]
	v_mul_f64 v[48:49], v[72:73], s[6:7]
	s_mov_b32 s22, 0xf8bb580b
	v_add_f64 v[0:1], v[12:13], v[0:1]
	s_mov_b32 s23, 0xbfe14ced
	v_add_f64 v[80:81], v[42:43], v[18:19]
	v_add_f64 v[76:77], v[40:41], v[16:17]
	v_mul_f64 v[54:55], v[74:75], s[22:23]
	s_mov_b32 s16, 0x8764f0ba
	v_fma_f64 v[24:25], v[98:99], s[26:27], v[48:49]
	s_mov_b32 s17, 0x3feaeb8c
	v_add_f64 v[0:1], v[2:3], v[0:1]
	v_add_f64 v[2:3], v[14:15], v[20:21]
	ds_read_b128 v[20:23], v61 offset:1568
	ds_read_b128 v[32:35], v61 offset:896
	v_add_f64 v[102:103], v[40:41], -v[16:17]
	v_mul_f64 v[112:113], v[80:81], s[16:17]
	v_fma_f64 v[90:91], v[76:77], s[16:17], -v[54:55]
	s_mov_b32 s18, 0x9bcd5057
	s_waitcnt lgkmcnt(0)
	v_add_f64 v[94:95], v[34:35], -v[22:23]
	v_add_f64 v[88:89], v[34:35], v[22:23]
	v_add_f64 v[2:3], v[24:25], v[2:3]
	ds_read_b128 v[28:31], v61 offset:1120
	ds_read_b128 v[24:27], v61 offset:1344
	s_mov_b32 s24, 0xfd768dbf
	s_mov_b32 s19, 0xbfeeb42a
	;; [unrolled: 1-line block ×3, first 2 shown]
	v_fma_f64 v[92:93], v[102:103], s[22:23], v[112:113]
	v_add_f64 v[86:87], v[32:33], v[20:21]
	v_mul_f64 v[58:59], v[94:95], s[24:25]
	v_add_f64 v[104:105], v[32:33], -v[20:21]
	v_mul_f64 v[114:115], v[88:89], s[18:19]
	v_add_f64 v[0:1], v[90:91], v[0:1]
	s_waitcnt lgkmcnt(0)
	v_add_f64 v[100:101], v[30:31], -v[26:27]
	v_add_f64 v[90:91], v[30:31], v[26:27]
	s_mov_b32 s20, 0xd9c712b6
	s_mov_b32 s21, 0x3fda9628
	;; [unrolled: 1-line block ×4, first 2 shown]
	v_add_f64 v[2:3], v[92:93], v[2:3]
	v_fma_f64 v[120:121], v[86:87], s[18:19], -v[58:59]
	v_fma_f64 v[122:123], v[104:105], s[24:25], v[114:115]
	v_add_f64 v[92:93], v[28:29], v[24:25]
	v_mul_f64 v[108:109], v[100:101], s[28:29]
	v_add_f64 v[106:107], v[28:29], -v[24:25]
	v_mul_f64 v[110:111], v[90:91], s[20:21]
	v_cmp_gt_u32_e64 s[2:3], 14, v60
	v_add_f64 v[0:1], v[120:121], v[0:1]
	v_add_f64 v[2:3], v[122:123], v[2:3]
	s_barrier
	v_fma_f64 v[120:121], v[92:93], s[20:21], -v[108:109]
	v_fma_f64 v[122:123], v[106:107], s[28:29], v[110:111]
	v_add_f64 v[0:1], v[120:121], v[0:1]
	v_add_f64 v[2:3], v[122:123], v[2:3]
	s_and_saveexec_b64 s[10:11], s[2:3]
	s_cbranch_execz .LBB0_20
; %bb.19:
	v_mul_f64 v[120:121], v[96:97], s[24:25]
	v_mul_f64 v[122:123], v[78:79], s[24:25]
	s_mov_b32 s31, 0x3fe14ced
	s_mov_b32 s30, s22
	v_mul_f64 v[130:131], v[98:99], s[30:31]
	v_mul_f64 v[134:135], v[82:83], s[30:31]
	v_mul_f64 v[124:125], v[102:103], s[14:15]
	v_mul_f64 v[126:127], v[74:75], s[14:15]
	v_fma_f64 v[132:133], v[84:85], s[18:19], v[120:121]
	v_fma_f64 v[136:137], v[68:69], s[18:19], -v[122:123]
	v_fma_f64 v[120:121], v[84:85], s[18:19], -v[120:121]
	v_mul_f64 v[128:129], v[104:105], s[28:29]
	v_fma_f64 v[142:143], v[72:73], s[16:17], v[130:131]
	v_fma_f64 v[144:145], v[70:71], s[16:17], -v[134:135]
	v_mul_f64 v[138:139], v[94:95], s[28:29]
	v_mul_f64 v[140:141], v[96:97], s[14:15]
	v_add_f64 v[132:133], v[14:15], v[132:133]
	v_add_f64 v[136:137], v[12:13], v[136:137]
	v_fma_f64 v[150:151], v[80:81], s[4:5], v[124:125]
	v_fma_f64 v[122:123], v[68:69], s[18:19], v[122:123]
	v_fma_f64 v[130:131], v[72:73], s[16:17], -v[130:131]
	v_add_f64 v[120:121], v[14:15], v[120:121]
	v_mul_f64 v[146:147], v[98:99], s[26:27]
	v_fma_f64 v[134:135], v[70:71], s[16:17], v[134:135]
	v_add_f64 v[132:133], v[142:143], v[132:133]
	v_fma_f64 v[142:143], v[76:77], s[4:5], -v[126:127]
	v_add_f64 v[136:137], v[144:145], v[136:137]
	v_fma_f64 v[144:145], v[88:89], s[20:21], v[128:129]
	v_add_f64 v[122:123], v[12:13], v[122:123]
	v_fma_f64 v[124:125], v[80:81], s[4:5], -v[124:125]
	v_add_f64 v[50:51], v[50:51], -v[140:141]
	v_add_f64 v[120:121], v[130:131], v[120:121]
	v_add_f64 v[132:133], v[150:151], v[132:133]
	v_fma_f64 v[150:151], v[86:87], s[20:21], -v[138:139]
	v_add_f64 v[136:137], v[142:143], v[136:137]
	s_mov_b32 s3, 0xbfefac9e
	s_mov_b32 s2, s26
	v_mul_f64 v[148:149], v[106:107], s[2:3]
	v_mul_f64 v[142:143], v[100:101], s[2:3]
	v_add_f64 v[122:123], v[134:135], v[122:123]
	v_add_f64 v[130:131], v[144:145], v[132:133]
	v_fma_f64 v[126:127], v[76:77], s[4:5], v[126:127]
	v_add_f64 v[132:133], v[150:151], v[136:137]
	v_mul_f64 v[136:137], v[102:103], s[22:23]
	v_add_f64 v[48:49], v[48:49], -v[146:147]
	v_add_f64 v[50:51], v[14:15], v[50:51]
	v_add_f64 v[120:121], v[124:125], v[120:121]
	v_fma_f64 v[124:125], v[88:89], s[20:21], -v[128:129]
	v_mul_f64 v[128:129], v[68:69], s[4:5]
	v_fma_f64 v[134:135], v[90:91], s[6:7], v[148:149]
	v_fma_f64 v[140:141], v[92:93], s[6:7], -v[142:143]
	v_add_f64 v[122:123], v[126:127], v[122:123]
	v_fma_f64 v[126:127], v[86:87], s[20:21], v[138:139]
	v_add_f64 v[112:113], v[112:113], -v[136:137]
	v_mul_f64 v[136:137], v[104:105], s[24:25]
	v_add_f64 v[138:139], v[48:49], v[50:51]
	v_add_f64 v[120:121], v[124:125], v[120:121]
	v_mul_f64 v[124:125], v[70:71], s[6:7]
	v_add_f64 v[52:53], v[128:129], v[52:53]
	v_mul_f64 v[128:129], v[96:97], s[2:3]
	s_mov_b32 s35, 0x3fd207e7
	s_mov_b32 s34, s24
	v_add_f64 v[50:51], v[134:135], v[130:131]
	v_add_f64 v[48:49], v[140:141], v[132:133]
	v_add_f64 v[122:123], v[126:127], v[122:123]
	v_add_f64 v[114:115], v[114:115], -v[136:137]
	v_add_f64 v[112:113], v[112:113], v[138:139]
	v_mul_f64 v[126:127], v[106:107], s[28:29]
	v_mul_f64 v[130:131], v[92:93], s[20:21]
	v_add_f64 v[56:57], v[124:125], v[56:57]
	v_mul_f64 v[124:125], v[76:77], s[16:17]
	v_add_f64 v[52:53], v[12:13], v[52:53]
	v_mul_f64 v[132:133], v[98:99], s[34:35]
	v_fma_f64 v[134:135], v[84:85], s[6:7], v[128:129]
	v_add_f64 v[112:113], v[114:115], v[112:113]
	v_add_f64 v[110:111], v[110:111], -v[126:127]
	v_mul_f64 v[114:115], v[86:87], s[18:19]
	v_mul_f64 v[126:127], v[102:103], s[28:29]
	v_add_f64 v[54:55], v[124:125], v[54:55]
	v_add_f64 v[52:53], v[56:57], v[52:53]
	;; [unrolled: 1-line block ×3, first 2 shown]
	v_fma_f64 v[108:109], v[72:73], s[18:19], v[132:133]
	v_add_f64 v[124:125], v[14:15], v[134:135]
	v_fma_f64 v[130:131], v[90:91], s[6:7], -v[148:149]
	v_mul_f64 v[134:135], v[78:79], s[2:3]
	v_add_f64 v[58:59], v[114:115], v[58:59]
	v_fma_f64 v[114:115], v[92:93], s[6:7], v[142:143]
	v_add_f64 v[52:53], v[54:55], v[52:53]
	v_mul_f64 v[136:137], v[104:105], s[22:23]
	v_mul_f64 v[138:139], v[82:83], s[34:35]
	v_add_f64 v[108:109], v[108:109], v[124:125]
	v_fma_f64 v[124:125], v[80:81], s[20:21], v[126:127]
	v_fma_f64 v[140:141], v[68:69], s[6:7], -v[134:135]
	v_add_f64 v[54:55], v[130:131], v[120:121]
	v_mul_f64 v[130:131], v[74:75], s[28:29]
	v_add_f64 v[120:121], v[58:59], v[52:53]
	v_add_f64 v[52:53], v[114:115], v[122:123]
	v_fma_f64 v[114:115], v[88:89], s[16:17], v[136:137]
	v_fma_f64 v[122:123], v[84:85], s[6:7], -v[128:129]
	v_add_f64 v[108:109], v[124:125], v[108:109]
	v_fma_f64 v[124:125], v[70:71], s[18:19], -v[138:139]
	v_add_f64 v[128:129], v[12:13], v[140:141]
	v_add_f64 v[58:59], v[110:111], v[112:113]
	v_fma_f64 v[110:111], v[72:73], s[18:19], -v[132:133]
	v_add_f64 v[56:57], v[56:57], v[120:121]
	s_mov_b32 s29, 0xbfed1bb4
	v_add_f64 v[112:113], v[14:15], v[122:123]
	v_add_f64 v[108:109], v[114:115], v[108:109]
	v_fma_f64 v[114:115], v[68:69], s[6:7], v[134:135]
	v_add_f64 v[120:121], v[124:125], v[128:129]
	v_fma_f64 v[122:123], v[76:77], s[20:21], -v[130:131]
	v_fma_f64 v[124:125], v[80:81], s[20:21], -v[126:127]
	v_fma_f64 v[128:129], v[70:71], s[18:19], v[138:139]
	v_mul_f64 v[126:127], v[96:97], s[28:29]
	v_add_f64 v[110:111], v[110:111], v[112:113]
	v_mul_f64 v[112:113], v[94:95], s[22:23]
	v_add_f64 v[114:115], v[12:13], v[114:115]
	v_fma_f64 v[130:131], v[76:77], s[20:21], v[130:131]
	v_add_f64 v[120:121], v[122:123], v[120:121]
	v_mul_f64 v[122:123], v[106:107], s[14:15]
	v_mul_f64 v[132:133], v[98:99], s[14:15]
	v_fma_f64 v[134:135], v[84:85], s[20:21], v[126:127]
	v_add_f64 v[110:111], v[124:125], v[110:111]
	v_fma_f64 v[124:125], v[86:87], s[16:17], -v[112:113]
	v_add_f64 v[114:115], v[128:129], v[114:115]
	v_mul_f64 v[128:129], v[100:101], s[14:15]
	v_fma_f64 v[136:137], v[88:89], s[16:17], -v[136:137]
	v_mul_f64 v[138:139], v[102:103], s[34:35]
	v_fma_f64 v[140:141], v[72:73], s[4:5], v[132:133]
	v_add_f64 v[134:135], v[14:15], v[134:135]
	v_fma_f64 v[112:113], v[86:87], s[16:17], v[112:113]
	v_add_f64 v[120:121], v[124:125], v[120:121]
	v_fma_f64 v[124:125], v[90:91], s[4:5], v[122:123]
	v_add_f64 v[114:115], v[130:131], v[114:115]
	v_fma_f64 v[130:131], v[92:93], s[4:5], -v[128:129]
	v_add_f64 v[136:137], v[136:137], v[110:111]
	v_fma_f64 v[142:143], v[80:81], s[18:19], v[138:139]
	v_add_f64 v[134:135], v[140:141], v[134:135]
	v_mul_f64 v[140:141], v[104:105], s[26:27]
	v_fma_f64 v[122:123], v[90:91], s[4:5], -v[122:123]
	v_add_f64 v[110:111], v[124:125], v[108:109]
	v_fma_f64 v[124:125], v[92:93], s[4:5], v[128:129]
	v_add_f64 v[108:109], v[130:131], v[120:121]
	v_add_f64 v[120:121], v[14:15], v[38:39]
	;; [unrolled: 1-line block ×4, first 2 shown]
	v_mul_f64 v[114:115], v[78:79], s[28:29]
	v_add_f64 v[128:129], v[142:143], v[134:135]
	v_fma_f64 v[134:135], v[88:89], s[6:7], v[140:141]
	v_add_f64 v[38:39], v[122:123], v[136:137]
	v_mul_f64 v[122:123], v[82:83], s[14:15]
	v_add_f64 v[46:47], v[120:121], v[46:47]
	v_add_f64 v[44:45], v[130:131], v[44:45]
	;; [unrolled: 1-line block ×3, first 2 shown]
	v_fma_f64 v[136:137], v[68:69], s[20:21], -v[114:115]
	v_fma_f64 v[124:125], v[84:85], s[20:21], -v[126:127]
	;; [unrolled: 1-line block ×3, first 2 shown]
	v_add_f64 v[112:113], v[134:135], v[128:129]
	v_fma_f64 v[114:115], v[68:69], s[20:21], v[114:115]
	v_add_f64 v[132:133], v[46:47], v[42:43]
	v_add_f64 v[40:41], v[44:45], v[40:41]
	v_fma_f64 v[120:121], v[70:71], s[4:5], -v[122:123]
	v_add_f64 v[126:127], v[12:13], v[136:137]
	v_mul_f64 v[128:129], v[74:75], s[34:35]
	v_add_f64 v[124:125], v[14:15], v[124:125]
	v_fma_f64 v[42:43], v[70:71], s[4:5], v[122:123]
	v_add_f64 v[46:47], v[12:13], v[114:115]
	v_add_f64 v[34:35], v[132:133], v[34:35]
	;; [unrolled: 1-line block ×3, first 2 shown]
	v_mul_f64 v[96:97], v[96:97], s[22:23]
	v_add_f64 v[44:45], v[120:121], v[126:127]
	v_fma_f64 v[114:115], v[76:77], s[18:19], -v[128:129]
	v_fma_f64 v[120:121], v[80:81], s[18:19], -v[138:139]
	v_add_f64 v[122:123], v[130:131], v[124:125]
	v_mul_f64 v[78:79], v[78:79], s[22:23]
	v_add_f64 v[30:31], v[34:35], v[30:31]
	v_add_f64 v[28:29], v[32:33], v[28:29]
	v_mul_f64 v[98:99], v[98:99], s[28:29]
	v_mul_f64 v[82:83], v[82:83], s[28:29]
	v_add_f64 v[44:45], v[114:115], v[44:45]
	v_fma_f64 v[114:115], v[88:89], s[6:7], -v[140:141]
	v_add_f64 v[120:121], v[120:121], v[122:123]
	v_fma_f64 v[122:123], v[84:85], s[16:17], v[96:97]
	v_fma_f64 v[84:85], v[84:85], s[16:17], -v[96:97]
	v_fma_f64 v[32:33], v[68:69], s[16:17], v[78:79]
	v_fma_f64 v[68:69], v[68:69], s[16:17], -v[78:79]
	v_add_f64 v[26:27], v[30:31], v[26:27]
	v_add_f64 v[24:25], v[28:29], v[24:25]
	v_mul_f64 v[102:103], v[102:103], s[2:3]
	v_add_f64 v[114:115], v[114:115], v[120:121]
	v_fma_f64 v[120:121], v[72:73], s[20:21], v[98:99]
	v_add_f64 v[122:123], v[14:15], v[122:123]
	v_mul_f64 v[34:35], v[74:75], s[2:3]
	v_fma_f64 v[72:73], v[72:73], s[20:21], -v[98:99]
	v_add_f64 v[14:15], v[14:15], v[84:85]
	v_fma_f64 v[74:75], v[70:71], s[20:21], v[82:83]
	v_add_f64 v[28:29], v[12:13], v[32:33]
	v_fma_f64 v[30:31], v[70:71], s[20:21], -v[82:83]
	v_add_f64 v[12:13], v[12:13], v[68:69]
	v_add_f64 v[22:23], v[26:27], v[22:23]
	;; [unrolled: 1-line block ×3, first 2 shown]
	v_mul_f64 v[124:125], v[94:95], s[26:27]
	v_mul_f64 v[104:105], v[104:105], s[14:15]
	;; [unrolled: 1-line block ×3, first 2 shown]
	v_fma_f64 v[32:33], v[80:81], s[6:7], -v[102:103]
	v_add_f64 v[14:15], v[72:73], v[14:15]
	v_fma_f64 v[68:69], v[76:77], s[6:7], v[34:35]
	v_add_f64 v[24:25], v[74:75], v[28:29]
	v_add_f64 v[42:43], v[42:43], v[46:47]
	v_mul_f64 v[46:47], v[106:107], s[30:31]
	v_fma_f64 v[126:127], v[76:77], s[18:19], v[128:129]
	v_add_f64 v[120:121], v[120:121], v[122:123]
	v_fma_f64 v[122:123], v[80:81], s[6:7], v[102:103]
	v_fma_f64 v[26:27], v[76:77], s[6:7], -v[34:35]
	v_add_f64 v[12:13], v[30:31], v[12:13]
	v_add_f64 v[18:19], v[22:23], v[18:19]
	;; [unrolled: 1-line block ×3, first 2 shown]
	v_mul_f64 v[134:135], v[100:101], s[30:31]
	v_mul_f64 v[106:107], v[106:107], s[24:25]
	;; [unrolled: 1-line block ×3, first 2 shown]
	v_fma_f64 v[28:29], v[88:89], s[4:5], -v[104:105]
	v_add_f64 v[14:15], v[32:33], v[14:15]
	v_fma_f64 v[30:31], v[86:87], s[4:5], v[94:95]
	v_add_f64 v[20:21], v[68:69], v[24:25]
	v_fma_f64 v[128:129], v[86:87], s[6:7], -v[124:125]
	v_fma_f64 v[130:131], v[90:91], s[16:17], v[46:47]
	v_add_f64 v[126:127], v[126:127], v[42:43]
	v_fma_f64 v[124:125], v[86:87], s[6:7], v[124:125]
	v_fma_f64 v[46:47], v[90:91], s[16:17], -v[46:47]
	v_fma_f64 v[40:41], v[88:89], s[4:5], v[104:105]
	v_add_f64 v[120:121], v[122:123], v[120:121]
	v_fma_f64 v[22:23], v[86:87], s[4:5], -v[94:95]
	v_add_f64 v[12:13], v[26:27], v[12:13]
	v_add_f64 v[10:11], v[18:19], v[10:11]
	v_add_f64 v[16:17], v[16:17], v[8:9]
	v_fma_f64 v[24:25], v[90:91], s[18:19], -v[106:107]
	v_add_f64 v[14:15], v[28:29], v[14:15]
	v_fma_f64 v[26:27], v[92:93], s[18:19], v[100:101]
	v_add_f64 v[18:19], v[30:31], v[20:21]
	v_add_f64 v[128:129], v[128:129], v[44:45]
	;; [unrolled: 1-line block ×4, first 2 shown]
	v_fma_f64 v[114:115], v[92:93], s[16:17], v[134:135]
	v_add_f64 v[42:43], v[130:131], v[112:113]
	v_fma_f64 v[112:113], v[92:93], s[16:17], -v[134:135]
	v_fma_f64 v[20:21], v[90:91], s[18:19], v[106:107]
	v_add_f64 v[28:29], v[40:41], v[120:121]
	v_fma_f64 v[30:31], v[92:93], s[18:19], -v[100:101]
	v_add_f64 v[22:23], v[22:23], v[12:13]
	v_add_f64 v[12:13], v[10:11], v[6:7]
	;; [unrolled: 1-line block ×6, first 2 shown]
	v_mul_u32_u24_e32 v4, 0xa0, v60
	v_add3_u32 v4, v119, v4, v118
	v_add_f64 v[40:41], v[112:113], v[128:129]
	v_add_f64 v[16:17], v[20:21], v[28:29]
	;; [unrolled: 1-line block ×3, first 2 shown]
	ds_write_b128 v4, v[10:13]
	ds_write_b128 v4, v[6:9] offset:16
	ds_write_b128 v4, v[44:47] offset:32
	;; [unrolled: 1-line block ×10, first 2 shown]
.LBB0_20:
	s_or_b64 exec, exec, s[10:11]
	v_add_u32_e32 v32, -11, v60
	v_cndmask_b32_e64 v57, v32, v60, s[0:1]
	v_mul_i32_i24_e32 v4, 6, v57
	v_mov_b32_e32 v5, 0
	v_lshlrev_b64 v[4:5], 4, v[4:5]
	v_mov_b32_e32 v6, s9
	v_add_co_u32_e64 v28, s[2:3], s8, v4
	v_addc_co_u32_e64 v29, s[2:3], v6, v5, s[2:3]
	s_waitcnt lgkmcnt(0)
	s_barrier
	global_load_dwordx4 v[4:7], v[28:29], off
	global_load_dwordx4 v[8:11], v[28:29], off offset:16
	global_load_dwordx4 v[12:15], v[28:29], off offset:32
	;; [unrolled: 1-line block ×5, first 2 shown]
	ds_read_b128 v[28:31], v117
	ds_read_b128 v[33:36], v61 offset:352
	ds_read_b128 v[37:40], v61 offset:704
	;; [unrolled: 1-line block ×6, first 2 shown]
	v_mov_b32_e32 v58, 0x4d0
	v_cmp_lt_u32_e64 s[2:3], 10, v60
	v_cndmask_b32_e64 v58, 0, v58, s[2:3]
	v_add_u32_e32 v58, 0, v58
	v_lshlrev_b32_e32 v57, 4, v57
	v_add3_u32 v59, v58, v57, v118
	s_mov_b32 s6, 0x37e14327
	s_mov_b32 s4, 0x36b3c0b5
	;; [unrolled: 1-line block ×16, first 2 shown]
	s_waitcnt vmcnt(0) lgkmcnt(0)
	s_barrier
	v_mul_f64 v[57:58], v[35:36], v[6:7]
	v_mul_f64 v[6:7], v[33:34], v[6:7]
	;; [unrolled: 1-line block ×12, first 2 shown]
	v_fma_f64 v[33:34], v[33:34], v[4:5], v[57:58]
	v_fma_f64 v[4:5], v[35:36], v[4:5], -v[6:7]
	v_fma_f64 v[6:7], v[37:38], v[8:9], v[68:69]
	v_fma_f64 v[8:9], v[39:40], v[8:9], -v[10:11]
	;; [unrolled: 2-line block ×6, first 2 shown]
	v_add_f64 v[18:19], v[33:34], v[10:11]
	v_add_f64 v[35:36], v[4:5], v[20:21]
	v_add_f64 v[10:11], v[33:34], -v[10:11]
	v_add_f64 v[4:5], v[4:5], -v[20:21]
	v_add_f64 v[20:21], v[6:7], v[14:15]
	v_add_f64 v[33:34], v[8:9], v[24:25]
	v_add_f64 v[6:7], v[6:7], -v[14:15]
	v_add_f64 v[8:9], v[8:9], -v[24:25]
	;; [unrolled: 4-line block ×4, first 2 shown]
	v_add_f64 v[18:19], v[18:19], -v[14:15]
	v_add_f64 v[35:36], v[35:36], -v[24:25]
	v_add_f64 v[20:21], v[14:15], -v[20:21]
	v_add_f64 v[33:34], v[24:25], -v[33:34]
	v_add_f64 v[41:42], v[22:23], v[6:7]
	v_add_f64 v[43:44], v[12:13], v[8:9]
	v_add_f64 v[45:46], v[22:23], -v[6:7]
	v_add_f64 v[47:48], v[12:13], -v[8:9]
	v_add_f64 v[14:15], v[14:15], v[16:17]
	v_add_f64 v[16:17], v[24:25], v[26:27]
	v_add_f64 v[6:7], v[6:7], -v[10:11]
	v_add_f64 v[49:50], v[8:9], -v[4:5]
	;; [unrolled: 1-line block ×4, first 2 shown]
	v_add_f64 v[24:25], v[41:42], v[10:11]
	v_add_f64 v[4:5], v[43:44], v[4:5]
	v_mul_f64 v[18:19], v[18:19], s[6:7]
	v_mul_f64 v[26:27], v[35:36], s[6:7]
	;; [unrolled: 1-line block ×6, first 2 shown]
	v_add_f64 v[8:9], v[28:29], v[14:15]
	v_add_f64 v[10:11], v[30:31], v[16:17]
	v_mul_f64 v[47:48], v[6:7], s[10:11]
	v_mul_f64 v[51:52], v[49:50], s[10:11]
	v_fma_f64 v[20:21], v[20:21], s[4:5], v[18:19]
	v_fma_f64 v[28:29], v[33:34], s[4:5], v[26:27]
	v_fma_f64 v[30:31], v[37:38], s[18:19], -v[35:36]
	v_fma_f64 v[33:34], v[39:40], s[18:19], -v[41:42]
	s_mov_b32 s19, 0xbfe77f67
	v_fma_f64 v[35:36], v[22:23], s[20:21], v[43:44]
	v_fma_f64 v[41:42], v[12:13], s[20:21], v[45:46]
	v_fma_f64 v[6:7], v[6:7], s[10:11], -v[43:44]
	v_fma_f64 v[43:44], v[49:50], s[10:11], -v[45:46]
	s_mov_b32 s21, 0x3fd5d0dc
	v_fma_f64 v[14:15], v[14:15], s[14:15], v[8:9]
	v_fma_f64 v[16:17], v[16:17], s[14:15], v[10:11]
	v_fma_f64 v[18:19], v[37:38], s[18:19], -v[18:19]
	v_fma_f64 v[26:27], v[39:40], s[18:19], -v[26:27]
	;; [unrolled: 1-line block ×4, first 2 shown]
	v_fma_f64 v[35:36], v[24:25], s[22:23], v[35:36]
	v_fma_f64 v[37:38], v[4:5], s[22:23], v[41:42]
	;; [unrolled: 1-line block ×3, first 2 shown]
	v_add_f64 v[43:44], v[20:21], v[14:15]
	v_add_f64 v[45:46], v[28:29], v[16:17]
	;; [unrolled: 1-line block ×3, first 2 shown]
	v_fma_f64 v[41:42], v[24:25], s[22:23], v[22:23]
	v_fma_f64 v[4:5], v[4:5], s[22:23], v[12:13]
	v_add_f64 v[47:48], v[26:27], v[16:17]
	v_fma_f64 v[6:7], v[24:25], s[22:23], v[6:7]
	v_add_f64 v[24:25], v[30:31], v[14:15]
	v_add_f64 v[26:27], v[33:34], v[16:17]
	;; [unrolled: 1-line block ×3, first 2 shown]
	v_add_f64 v[14:15], v[45:46], -v[35:36]
	v_add_f64 v[16:17], v[4:5], v[28:29]
	v_add_f64 v[18:19], v[47:48], -v[41:42]
	v_add_f64 v[28:29], v[28:29], -v[4:5]
	;; [unrolled: 1-line block ×3, first 2 shown]
	v_add_f64 v[22:23], v[6:7], v[26:27]
	v_add_f64 v[24:25], v[39:40], v[24:25]
	v_add_f64 v[26:27], v[26:27], -v[6:7]
	v_add_f64 v[30:31], v[41:42], v[47:48]
	v_add_f64 v[4:5], v[43:44], -v[37:38]
	v_add_f64 v[6:7], v[35:36], v[45:46]
	ds_write_b128 v59, v[8:11]
	ds_write_b128 v59, v[12:15] offset:176
	ds_write_b128 v59, v[16:19] offset:352
	;; [unrolled: 1-line block ×6, first 2 shown]
	s_waitcnt lgkmcnt(0)
	s_barrier
	ds_read_b128 v[12:15], v117
	ds_read_b128 v[16:19], v61 offset:352
	ds_read_b128 v[20:23], v61 offset:1232
	;; [unrolled: 1-line block ×5, first 2 shown]
	s_and_saveexec_b64 s[2:3], s[0:1]
	s_cbranch_execz .LBB0_22
; %bb.21:
	ds_read_b128 v[4:7], v61 offset:1056
	ds_read_b128 v[0:3], v61 offset:2288
	v_add_u32_e32 v32, 0x42, v60
.LBB0_22:
	s_or_b64 exec, exec, s[2:3]
	v_mov_b32_e32 v37, s9
	v_add_co_u32_e64 v33, s[2:3], s8, v64
	v_addc_co_u32_e64 v34, s[2:3], v37, v65, s[2:3]
	global_load_dwordx4 v[33:36], v[33:34], off offset:1056
	v_add_co_u32_e64 v45, s[2:3], s8, v66
	v_addc_co_u32_e64 v46, s[2:3], v37, v67, s[2:3]
	global_load_dwordx4 v[37:40], v[45:46], off offset:1408
	global_load_dwordx4 v[41:44], v[45:46], off offset:1760
	s_waitcnt vmcnt(0) lgkmcnt(0)
	s_barrier
	v_mul_f64 v[45:46], v[22:23], v[35:36]
	v_mul_f64 v[35:36], v[20:21], v[35:36]
	;; [unrolled: 1-line block ×6, first 2 shown]
	v_fma_f64 v[20:21], v[20:21], v[33:34], v[45:46]
	v_fma_f64 v[22:23], v[22:23], v[33:34], -v[35:36]
	v_fma_f64 v[28:29], v[28:29], v[37:38], v[47:48]
	v_fma_f64 v[30:31], v[30:31], v[37:38], -v[39:40]
	;; [unrolled: 2-line block ×3, first 2 shown]
	v_add_f64 v[20:21], v[12:13], -v[20:21]
	v_add_f64 v[22:23], v[14:15], -v[22:23]
	v_add_f64 v[24:25], v[16:17], -v[28:29]
	v_add_f64 v[26:27], v[18:19], -v[30:31]
	v_add_f64 v[28:29], v[8:9], -v[33:34]
	v_add_f64 v[30:31], v[10:11], -v[35:36]
	v_fma_f64 v[12:13], v[12:13], 2.0, -v[20:21]
	v_fma_f64 v[14:15], v[14:15], 2.0, -v[22:23]
	v_fma_f64 v[16:17], v[16:17], 2.0, -v[24:25]
	v_fma_f64 v[18:19], v[18:19], 2.0, -v[26:27]
	v_fma_f64 v[8:9], v[8:9], 2.0, -v[28:29]
	v_fma_f64 v[10:11], v[10:11], 2.0, -v[30:31]
	ds_write_b128 v61, v[20:23] offset:1232
	ds_write_b128 v61, v[24:27] offset:1584
	ds_write_b128 v61, v[12:15]
	ds_write_b128 v61, v[16:19] offset:352
	ds_write_b128 v61, v[8:11] offset:704
	;; [unrolled: 1-line block ×3, first 2 shown]
	s_and_saveexec_b64 s[2:3], s[0:1]
	s_cbranch_execz .LBB0_24
; %bb.23:
	v_mov_b32_e32 v33, 0
	v_lshlrev_b64 v[8:9], 4, v[32:33]
	v_mov_b32_e32 v10, s9
	v_add_co_u32_e64 v8, s[0:1], s8, v8
	v_addc_co_u32_e64 v9, s[0:1], v10, v9, s[0:1]
	global_load_dwordx4 v[8:11], v[8:9], off offset:1056
	s_waitcnt vmcnt(0)
	v_mul_f64 v[12:13], v[0:1], v[10:11]
	v_mul_f64 v[10:11], v[2:3], v[10:11]
	v_fma_f64 v[2:3], v[2:3], v[8:9], -v[12:13]
	v_fma_f64 v[0:1], v[0:1], v[8:9], v[10:11]
	v_add_f64 v[2:3], v[6:7], -v[2:3]
	v_add_f64 v[0:1], v[4:5], -v[0:1]
	v_fma_f64 v[6:7], v[6:7], 2.0, -v[2:3]
	v_fma_f64 v[4:5], v[4:5], 2.0, -v[0:1]
	ds_write_b128 v61, v[4:7] offset:1056
	ds_write_b128 v61, v[0:3] offset:2288
.LBB0_24:
	s_or_b64 exec, exec, s[2:3]
	s_waitcnt lgkmcnt(0)
	s_barrier
	s_and_saveexec_b64 s[0:1], vcc
	s_cbranch_execz .LBB0_26
; %bb.25:
	v_lshl_add_u32 v10, v60, 4, v116
	v_mov_b32_e32 v61, 0
	ds_read_b128 v[0:3], v10
	v_mov_b32_e32 v4, s13
	v_add_co_u32_e32 v11, vcc, s12, v62
	v_addc_co_u32_e32 v12, vcc, v4, v63, vcc
	v_lshlrev_b64 v[4:5], 4, v[60:61]
	v_add_co_u32_e32 v8, vcc, v11, v4
	v_addc_co_u32_e32 v9, vcc, v12, v5, vcc
	ds_read_b128 v[4:7], v10 offset:352
	s_waitcnt lgkmcnt(1)
	global_store_dwordx4 v[8:9], v[0:3], off
	s_nop 0
	v_add_u32_e32 v0, 22, v60
	v_mov_b32_e32 v1, v61
	v_lshlrev_b64 v[0:1], 4, v[0:1]
	v_add_co_u32_e32 v0, vcc, v11, v0
	v_addc_co_u32_e32 v1, vcc, v12, v1, vcc
	s_waitcnt lgkmcnt(0)
	global_store_dwordx4 v[0:1], v[4:7], off
	ds_read_b128 v[0:3], v10 offset:704
	v_add_u32_e32 v4, 44, v60
	v_mov_b32_e32 v5, v61
	v_lshlrev_b64 v[4:5], 4, v[4:5]
	v_add_co_u32_e32 v8, vcc, v11, v4
	v_addc_co_u32_e32 v9, vcc, v12, v5, vcc
	ds_read_b128 v[4:7], v10 offset:1056
	s_waitcnt lgkmcnt(1)
	global_store_dwordx4 v[8:9], v[0:3], off
	s_nop 0
	v_add_u32_e32 v0, 0x42, v60
	v_mov_b32_e32 v1, v61
	v_lshlrev_b64 v[0:1], 4, v[0:1]
	v_add_co_u32_e32 v0, vcc, v11, v0
	v_addc_co_u32_e32 v1, vcc, v12, v1, vcc
	s_waitcnt lgkmcnt(0)
	global_store_dwordx4 v[0:1], v[4:7], off
	ds_read_b128 v[0:3], v10 offset:1408
	v_add_u32_e32 v4, 0x58, v60
	v_mov_b32_e32 v5, v61
	v_lshlrev_b64 v[4:5], 4, v[4:5]
	v_add_co_u32_e32 v8, vcc, v11, v4
	v_addc_co_u32_e32 v9, vcc, v12, v5, vcc
	ds_read_b128 v[4:7], v10 offset:1760
	s_waitcnt lgkmcnt(1)
	global_store_dwordx4 v[8:9], v[0:3], off
	s_nop 0
	v_add_u32_e32 v0, 0x6e, v60
	v_mov_b32_e32 v1, v61
	v_lshlrev_b64 v[0:1], 4, v[0:1]
	v_add_u32_e32 v60, 0x84, v60
	v_add_co_u32_e32 v0, vcc, v11, v0
	v_addc_co_u32_e32 v1, vcc, v12, v1, vcc
	s_waitcnt lgkmcnt(0)
	global_store_dwordx4 v[0:1], v[4:7], off
	ds_read_b128 v[0:3], v10 offset:2112
	v_lshlrev_b64 v[4:5], 4, v[60:61]
	v_add_co_u32_e32 v4, vcc, v11, v4
	v_addc_co_u32_e32 v5, vcc, v12, v5, vcc
	s_waitcnt lgkmcnt(0)
	global_store_dwordx4 v[4:5], v[0:3], off
.LBB0_26:
	s_endpgm
	.section	.rodata,"a",@progbits
	.p2align	6, 0x0
	.amdhsa_kernel fft_rtc_back_len154_factors_11_7_2_wgs_110_tpt_22_dp_ip_CI_unitstride_sbrr_C2R_dirReg
		.amdhsa_group_segment_fixed_size 0
		.amdhsa_private_segment_fixed_size 0
		.amdhsa_kernarg_size 88
		.amdhsa_user_sgpr_count 6
		.amdhsa_user_sgpr_private_segment_buffer 1
		.amdhsa_user_sgpr_dispatch_ptr 0
		.amdhsa_user_sgpr_queue_ptr 0
		.amdhsa_user_sgpr_kernarg_segment_ptr 1
		.amdhsa_user_sgpr_dispatch_id 0
		.amdhsa_user_sgpr_flat_scratch_init 0
		.amdhsa_user_sgpr_private_segment_size 0
		.amdhsa_uses_dynamic_stack 0
		.amdhsa_system_sgpr_private_segment_wavefront_offset 0
		.amdhsa_system_sgpr_workgroup_id_x 1
		.amdhsa_system_sgpr_workgroup_id_y 0
		.amdhsa_system_sgpr_workgroup_id_z 0
		.amdhsa_system_sgpr_workgroup_info 0
		.amdhsa_system_vgpr_workitem_id 0
		.amdhsa_next_free_vgpr 152
		.amdhsa_next_free_sgpr 36
		.amdhsa_reserve_vcc 1
		.amdhsa_reserve_flat_scratch 0
		.amdhsa_float_round_mode_32 0
		.amdhsa_float_round_mode_16_64 0
		.amdhsa_float_denorm_mode_32 3
		.amdhsa_float_denorm_mode_16_64 3
		.amdhsa_dx10_clamp 1
		.amdhsa_ieee_mode 1
		.amdhsa_fp16_overflow 0
		.amdhsa_exception_fp_ieee_invalid_op 0
		.amdhsa_exception_fp_denorm_src 0
		.amdhsa_exception_fp_ieee_div_zero 0
		.amdhsa_exception_fp_ieee_overflow 0
		.amdhsa_exception_fp_ieee_underflow 0
		.amdhsa_exception_fp_ieee_inexact 0
		.amdhsa_exception_int_div_zero 0
	.end_amdhsa_kernel
	.text
.Lfunc_end0:
	.size	fft_rtc_back_len154_factors_11_7_2_wgs_110_tpt_22_dp_ip_CI_unitstride_sbrr_C2R_dirReg, .Lfunc_end0-fft_rtc_back_len154_factors_11_7_2_wgs_110_tpt_22_dp_ip_CI_unitstride_sbrr_C2R_dirReg
                                        ; -- End function
	.section	.AMDGPU.csdata,"",@progbits
; Kernel info:
; codeLenInByte = 7264
; NumSgprs: 40
; NumVgprs: 152
; ScratchSize: 0
; MemoryBound: 0
; FloatMode: 240
; IeeeMode: 1
; LDSByteSize: 0 bytes/workgroup (compile time only)
; SGPRBlocks: 4
; VGPRBlocks: 37
; NumSGPRsForWavesPerEU: 40
; NumVGPRsForWavesPerEU: 152
; Occupancy: 1
; WaveLimiterHint : 1
; COMPUTE_PGM_RSRC2:SCRATCH_EN: 0
; COMPUTE_PGM_RSRC2:USER_SGPR: 6
; COMPUTE_PGM_RSRC2:TRAP_HANDLER: 0
; COMPUTE_PGM_RSRC2:TGID_X_EN: 1
; COMPUTE_PGM_RSRC2:TGID_Y_EN: 0
; COMPUTE_PGM_RSRC2:TGID_Z_EN: 0
; COMPUTE_PGM_RSRC2:TIDIG_COMP_CNT: 0
	.type	__hip_cuid_7dca5d6f5188d1a5,@object ; @__hip_cuid_7dca5d6f5188d1a5
	.section	.bss,"aw",@nobits
	.globl	__hip_cuid_7dca5d6f5188d1a5
__hip_cuid_7dca5d6f5188d1a5:
	.byte	0                               ; 0x0
	.size	__hip_cuid_7dca5d6f5188d1a5, 1

	.ident	"AMD clang version 19.0.0git (https://github.com/RadeonOpenCompute/llvm-project roc-6.4.0 25133 c7fe45cf4b819c5991fe208aaa96edf142730f1d)"
	.section	".note.GNU-stack","",@progbits
	.addrsig
	.addrsig_sym __hip_cuid_7dca5d6f5188d1a5
	.amdgpu_metadata
---
amdhsa.kernels:
  - .args:
      - .actual_access:  read_only
        .address_space:  global
        .offset:         0
        .size:           8
        .value_kind:     global_buffer
      - .offset:         8
        .size:           8
        .value_kind:     by_value
      - .actual_access:  read_only
        .address_space:  global
        .offset:         16
        .size:           8
        .value_kind:     global_buffer
      - .actual_access:  read_only
        .address_space:  global
        .offset:         24
        .size:           8
        .value_kind:     global_buffer
      - .offset:         32
        .size:           8
        .value_kind:     by_value
      - .actual_access:  read_only
        .address_space:  global
        .offset:         40
        .size:           8
        .value_kind:     global_buffer
      - .actual_access:  read_only
        .address_space:  global
        .offset:         48
        .size:           8
        .value_kind:     global_buffer
      - .offset:         56
        .size:           4
        .value_kind:     by_value
      - .actual_access:  read_only
        .address_space:  global
        .offset:         64
        .size:           8
        .value_kind:     global_buffer
      - .actual_access:  read_only
        .address_space:  global
        .offset:         72
        .size:           8
        .value_kind:     global_buffer
      - .address_space:  global
        .offset:         80
        .size:           8
        .value_kind:     global_buffer
    .group_segment_fixed_size: 0
    .kernarg_segment_align: 8
    .kernarg_segment_size: 88
    .language:       OpenCL C
    .language_version:
      - 2
      - 0
    .max_flat_workgroup_size: 110
    .name:           fft_rtc_back_len154_factors_11_7_2_wgs_110_tpt_22_dp_ip_CI_unitstride_sbrr_C2R_dirReg
    .private_segment_fixed_size: 0
    .sgpr_count:     40
    .sgpr_spill_count: 0
    .symbol:         fft_rtc_back_len154_factors_11_7_2_wgs_110_tpt_22_dp_ip_CI_unitstride_sbrr_C2R_dirReg.kd
    .uniform_work_group_size: 1
    .uses_dynamic_stack: false
    .vgpr_count:     152
    .vgpr_spill_count: 0
    .wavefront_size: 64
amdhsa.target:   amdgcn-amd-amdhsa--gfx906
amdhsa.version:
  - 1
  - 2
...

	.end_amdgpu_metadata
